;; amdgpu-corpus repo=ROCm/rocFFT kind=compiled arch=gfx906 opt=O3
	.text
	.amdgcn_target "amdgcn-amd-amdhsa--gfx906"
	.amdhsa_code_object_version 6
	.protected	fft_rtc_fwd_len2400_factors_4_10_10_6_wgs_240_tpt_240_halfLds_dp_ip_CI_sbrr_dirReg ; -- Begin function fft_rtc_fwd_len2400_factors_4_10_10_6_wgs_240_tpt_240_halfLds_dp_ip_CI_sbrr_dirReg
	.globl	fft_rtc_fwd_len2400_factors_4_10_10_6_wgs_240_tpt_240_halfLds_dp_ip_CI_sbrr_dirReg
	.p2align	8
	.type	fft_rtc_fwd_len2400_factors_4_10_10_6_wgs_240_tpt_240_halfLds_dp_ip_CI_sbrr_dirReg,@function
fft_rtc_fwd_len2400_factors_4_10_10_6_wgs_240_tpt_240_halfLds_dp_ip_CI_sbrr_dirReg: ; @fft_rtc_fwd_len2400_factors_4_10_10_6_wgs_240_tpt_240_halfLds_dp_ip_CI_sbrr_dirReg
; %bb.0:
	s_load_dwordx2 s[14:15], s[4:5], 0x18
	s_load_dwordx4 s[8:11], s[4:5], 0x0
	s_load_dwordx2 s[12:13], s[4:5], 0x50
	v_mul_u32_u24_e32 v1, 0x112, v0
	v_add_u32_sdwa v5, s6, v1 dst_sel:DWORD dst_unused:UNUSED_PAD src0_sel:DWORD src1_sel:WORD_1
	s_waitcnt lgkmcnt(0)
	s_load_dwordx2 s[2:3], s[14:15], 0x0
	v_cmp_lt_u64_e64 s[0:1], s[10:11], 2
	v_mov_b32_e32 v3, 0
	v_mov_b32_e32 v1, 0
	;; [unrolled: 1-line block ×3, first 2 shown]
	s_and_b64 vcc, exec, s[0:1]
	v_mov_b32_e32 v2, 0
	s_cbranch_vccnz .LBB0_8
; %bb.1:
	s_load_dwordx2 s[0:1], s[4:5], 0x10
	s_add_u32 s6, s14, 8
	s_addc_u32 s7, s15, 0
	v_mov_b32_e32 v1, 0
	v_mov_b32_e32 v2, 0
	s_waitcnt lgkmcnt(0)
	s_add_u32 s16, s0, 8
	s_addc_u32 s17, s1, 0
	s_mov_b64 s[18:19], 1
.LBB0_2:                                ; =>This Inner Loop Header: Depth=1
	s_load_dwordx2 s[20:21], s[16:17], 0x0
                                        ; implicit-def: $vgpr7_vgpr8
	s_waitcnt lgkmcnt(0)
	v_or_b32_e32 v4, s21, v6
	v_cmp_ne_u64_e32 vcc, 0, v[3:4]
	s_and_saveexec_b64 s[0:1], vcc
	s_xor_b64 s[22:23], exec, s[0:1]
	s_cbranch_execz .LBB0_4
; %bb.3:                                ;   in Loop: Header=BB0_2 Depth=1
	v_cvt_f32_u32_e32 v4, s20
	v_cvt_f32_u32_e32 v7, s21
	s_sub_u32 s0, 0, s20
	s_subb_u32 s1, 0, s21
	v_mac_f32_e32 v4, 0x4f800000, v7
	v_rcp_f32_e32 v4, v4
	v_mul_f32_e32 v4, 0x5f7ffffc, v4
	v_mul_f32_e32 v7, 0x2f800000, v4
	v_trunc_f32_e32 v7, v7
	v_mac_f32_e32 v4, 0xcf800000, v7
	v_cvt_u32_f32_e32 v7, v7
	v_cvt_u32_f32_e32 v4, v4
	v_mul_lo_u32 v8, s0, v7
	v_mul_hi_u32 v9, s0, v4
	v_mul_lo_u32 v11, s1, v4
	v_mul_lo_u32 v10, s0, v4
	v_add_u32_e32 v8, v9, v8
	v_add_u32_e32 v8, v8, v11
	v_mul_hi_u32 v9, v4, v10
	v_mul_lo_u32 v11, v4, v8
	v_mul_hi_u32 v13, v4, v8
	v_mul_hi_u32 v12, v7, v10
	v_mul_lo_u32 v10, v7, v10
	v_mul_hi_u32 v14, v7, v8
	v_add_co_u32_e32 v9, vcc, v9, v11
	v_addc_co_u32_e32 v11, vcc, 0, v13, vcc
	v_mul_lo_u32 v8, v7, v8
	v_add_co_u32_e32 v9, vcc, v9, v10
	v_addc_co_u32_e32 v9, vcc, v11, v12, vcc
	v_addc_co_u32_e32 v10, vcc, 0, v14, vcc
	v_add_co_u32_e32 v8, vcc, v9, v8
	v_addc_co_u32_e32 v9, vcc, 0, v10, vcc
	v_add_co_u32_e32 v4, vcc, v4, v8
	v_addc_co_u32_e32 v7, vcc, v7, v9, vcc
	v_mul_lo_u32 v8, s0, v7
	v_mul_hi_u32 v9, s0, v4
	v_mul_lo_u32 v10, s1, v4
	v_mul_lo_u32 v11, s0, v4
	v_add_u32_e32 v8, v9, v8
	v_add_u32_e32 v8, v8, v10
	v_mul_lo_u32 v12, v4, v8
	v_mul_hi_u32 v13, v4, v11
	v_mul_hi_u32 v14, v4, v8
	;; [unrolled: 1-line block ×3, first 2 shown]
	v_mul_lo_u32 v11, v7, v11
	v_mul_hi_u32 v9, v7, v8
	v_add_co_u32_e32 v12, vcc, v13, v12
	v_addc_co_u32_e32 v13, vcc, 0, v14, vcc
	v_mul_lo_u32 v8, v7, v8
	v_add_co_u32_e32 v11, vcc, v12, v11
	v_addc_co_u32_e32 v10, vcc, v13, v10, vcc
	v_addc_co_u32_e32 v9, vcc, 0, v9, vcc
	v_add_co_u32_e32 v8, vcc, v10, v8
	v_addc_co_u32_e32 v9, vcc, 0, v9, vcc
	v_add_co_u32_e32 v4, vcc, v4, v8
	v_addc_co_u32_e32 v9, vcc, v7, v9, vcc
	v_mad_u64_u32 v[7:8], s[0:1], v5, v9, 0
	v_mul_hi_u32 v10, v5, v4
	v_add_co_u32_e32 v11, vcc, v10, v7
	v_addc_co_u32_e32 v12, vcc, 0, v8, vcc
	v_mad_u64_u32 v[7:8], s[0:1], v6, v4, 0
	v_mad_u64_u32 v[9:10], s[0:1], v6, v9, 0
	v_add_co_u32_e32 v4, vcc, v11, v7
	v_addc_co_u32_e32 v4, vcc, v12, v8, vcc
	v_addc_co_u32_e32 v7, vcc, 0, v10, vcc
	v_add_co_u32_e32 v4, vcc, v4, v9
	v_addc_co_u32_e32 v9, vcc, 0, v7, vcc
	v_mul_lo_u32 v10, s21, v4
	v_mul_lo_u32 v11, s20, v9
	v_mad_u64_u32 v[7:8], s[0:1], s20, v4, 0
	v_add3_u32 v8, v8, v11, v10
	v_sub_u32_e32 v10, v6, v8
	v_mov_b32_e32 v11, s21
	v_sub_co_u32_e32 v7, vcc, v5, v7
	v_subb_co_u32_e64 v10, s[0:1], v10, v11, vcc
	v_subrev_co_u32_e64 v11, s[0:1], s20, v7
	v_subbrev_co_u32_e64 v10, s[0:1], 0, v10, s[0:1]
	v_cmp_le_u32_e64 s[0:1], s21, v10
	v_cndmask_b32_e64 v12, 0, -1, s[0:1]
	v_cmp_le_u32_e64 s[0:1], s20, v11
	v_cndmask_b32_e64 v11, 0, -1, s[0:1]
	v_cmp_eq_u32_e64 s[0:1], s21, v10
	v_cndmask_b32_e64 v10, v12, v11, s[0:1]
	v_add_co_u32_e64 v11, s[0:1], 2, v4
	v_addc_co_u32_e64 v12, s[0:1], 0, v9, s[0:1]
	v_add_co_u32_e64 v13, s[0:1], 1, v4
	v_addc_co_u32_e64 v14, s[0:1], 0, v9, s[0:1]
	v_subb_co_u32_e32 v8, vcc, v6, v8, vcc
	v_cmp_ne_u32_e64 s[0:1], 0, v10
	v_cmp_le_u32_e32 vcc, s21, v8
	v_cndmask_b32_e64 v10, v14, v12, s[0:1]
	v_cndmask_b32_e64 v12, 0, -1, vcc
	v_cmp_le_u32_e32 vcc, s20, v7
	v_cndmask_b32_e64 v7, 0, -1, vcc
	v_cmp_eq_u32_e32 vcc, s21, v8
	v_cndmask_b32_e32 v7, v12, v7, vcc
	v_cmp_ne_u32_e32 vcc, 0, v7
	v_cndmask_b32_e64 v7, v13, v11, s[0:1]
	v_cndmask_b32_e32 v8, v9, v10, vcc
	v_cndmask_b32_e32 v7, v4, v7, vcc
.LBB0_4:                                ;   in Loop: Header=BB0_2 Depth=1
	s_andn2_saveexec_b64 s[0:1], s[22:23]
	s_cbranch_execz .LBB0_6
; %bb.5:                                ;   in Loop: Header=BB0_2 Depth=1
	v_cvt_f32_u32_e32 v4, s20
	s_sub_i32 s22, 0, s20
	v_rcp_iflag_f32_e32 v4, v4
	v_mul_f32_e32 v4, 0x4f7ffffe, v4
	v_cvt_u32_f32_e32 v4, v4
	v_mul_lo_u32 v7, s22, v4
	v_mul_hi_u32 v7, v4, v7
	v_add_u32_e32 v4, v4, v7
	v_mul_hi_u32 v4, v5, v4
	v_mul_lo_u32 v7, v4, s20
	v_add_u32_e32 v8, 1, v4
	v_sub_u32_e32 v7, v5, v7
	v_subrev_u32_e32 v9, s20, v7
	v_cmp_le_u32_e32 vcc, s20, v7
	v_cndmask_b32_e32 v7, v7, v9, vcc
	v_cndmask_b32_e32 v4, v4, v8, vcc
	v_add_u32_e32 v8, 1, v4
	v_cmp_le_u32_e32 vcc, s20, v7
	v_cndmask_b32_e32 v7, v4, v8, vcc
	v_mov_b32_e32 v8, v3
.LBB0_6:                                ;   in Loop: Header=BB0_2 Depth=1
	s_or_b64 exec, exec, s[0:1]
	v_mul_lo_u32 v4, v8, s20
	v_mul_lo_u32 v11, v7, s21
	v_mad_u64_u32 v[9:10], s[0:1], v7, s20, 0
	s_load_dwordx2 s[0:1], s[6:7], 0x0
	s_add_u32 s18, s18, 1
	v_add3_u32 v4, v10, v11, v4
	v_sub_co_u32_e32 v5, vcc, v5, v9
	v_subb_co_u32_e32 v4, vcc, v6, v4, vcc
	s_waitcnt lgkmcnt(0)
	v_mul_lo_u32 v4, s0, v4
	v_mul_lo_u32 v6, s1, v5
	v_mad_u64_u32 v[1:2], s[0:1], s0, v5, v[1:2]
	s_addc_u32 s19, s19, 0
	s_add_u32 s6, s6, 8
	v_add3_u32 v2, v6, v2, v4
	v_mov_b32_e32 v4, s10
	v_mov_b32_e32 v5, s11
	s_addc_u32 s7, s7, 0
	v_cmp_ge_u64_e32 vcc, s[18:19], v[4:5]
	s_add_u32 s16, s16, 8
	s_addc_u32 s17, s17, 0
	s_cbranch_vccnz .LBB0_9
; %bb.7:                                ;   in Loop: Header=BB0_2 Depth=1
	v_mov_b32_e32 v5, v7
	v_mov_b32_e32 v6, v8
	s_branch .LBB0_2
.LBB0_8:
	v_mov_b32_e32 v8, v6
	v_mov_b32_e32 v7, v5
.LBB0_9:
	s_lshl_b64 s[0:1], s[10:11], 3
	s_add_u32 s0, s14, s0
	s_addc_u32 s1, s15, s1
	s_load_dwordx2 s[6:7], s[0:1], 0x0
	s_load_dwordx2 s[10:11], s[4:5], 0x20
                                        ; implicit-def: $vgpr75
	s_waitcnt lgkmcnt(0)
	v_mad_u64_u32 v[1:2], s[0:1], s6, v7, v[1:2]
	s_mov_b32 s0, 0x1111112
	v_mul_lo_u32 v3, s6, v8
	v_mul_lo_u32 v4, s7, v7
	v_mul_hi_u32 v5, v0, s0
	v_cmp_gt_u64_e32 vcc, s[10:11], v[7:8]
	v_cmp_le_u64_e64 s[0:1], s[10:11], v[7:8]
	v_add3_u32 v2, v4, v2, v3
	v_mul_u32_u24_e32 v3, 0xf0, v5
	v_sub_u32_e32 v74, v0, v3
	s_and_saveexec_b64 s[4:5], s[0:1]
	s_xor_b64 s[0:1], exec, s[4:5]
; %bb.10:
	v_add_u32_e32 v75, 0xf0, v74
; %bb.11:
	s_or_saveexec_b64 s[4:5], s[0:1]
	v_lshlrev_b64 v[50:51], 4, v[1:2]
                                        ; implicit-def: $vgpr12_vgpr13
                                        ; implicit-def: $vgpr24_vgpr25
                                        ; implicit-def: $vgpr16_vgpr17
                                        ; implicit-def: $vgpr20_vgpr21
                                        ; implicit-def: $vgpr32_vgpr33
                                        ; implicit-def: $vgpr36_vgpr37
                                        ; implicit-def: $vgpr48_vgpr49
                                        ; implicit-def: $vgpr28_vgpr29
                                        ; implicit-def: $vgpr44_vgpr45
                                        ; implicit-def: $vgpr8_vgpr9
                                        ; implicit-def: $vgpr40_vgpr41
                                        ; implicit-def: $vgpr4_vgpr5
	s_xor_b64 exec, exec, s[4:5]
	s_cbranch_execz .LBB0_15
; %bb.12:
	v_mad_u64_u32 v[2:3], s[0:1], s2, v74, 0
	v_add_u32_e32 v7, 0x258, v74
	v_mad_u64_u32 v[4:5], s[0:1], s2, v7, 0
	v_mov_b32_e32 v0, v3
	v_mad_u64_u32 v[0:1], s[0:1], s3, v74, v[0:1]
	v_mov_b32_e32 v6, s13
	v_add_u32_e32 v8, 0x4b0, v74
	v_mov_b32_e32 v3, v0
	v_add_co_u32_e64 v0, s[0:1], s12, v50
	v_addc_co_u32_e64 v1, s[0:1], v6, v51, s[0:1]
	v_mad_u64_u32 v[5:6], s[0:1], s3, v7, v[5:6]
	v_mad_u64_u32 v[6:7], s[0:1], s2, v8, 0
	v_lshlrev_b64 v[2:3], 4, v[2:3]
	v_add_u32_e32 v75, 0xf0, v74
	v_add_co_u32_e64 v26, s[0:1], v0, v2
	v_addc_co_u32_e64 v27, s[0:1], v1, v3, s[0:1]
	v_lshlrev_b64 v[2:3], 4, v[4:5]
	v_mov_b32_e32 v4, v7
	v_mad_u64_u32 v[4:5], s[0:1], s3, v8, v[4:5]
	v_add_u32_e32 v5, 0x708, v74
	v_mad_u64_u32 v[8:9], s[0:1], s2, v5, 0
	v_add_co_u32_e64 v28, s[0:1], v0, v2
	v_mov_b32_e32 v7, v4
	v_mov_b32_e32 v4, v9
	v_addc_co_u32_e64 v29, s[0:1], v1, v3, s[0:1]
	v_mad_u64_u32 v[4:5], s[0:1], s3, v5, v[4:5]
	v_lshlrev_b64 v[2:3], 4, v[6:7]
	v_mad_u64_u32 v[5:6], s[0:1], s2, v75, 0
	v_add_co_u32_e64 v30, s[0:1], v0, v2
	v_mov_b32_e32 v9, v4
	v_mov_b32_e32 v4, v6
	v_addc_co_u32_e64 v31, s[0:1], v1, v3, s[0:1]
	v_lshlrev_b64 v[2:3], 4, v[8:9]
	v_mad_u64_u32 v[6:7], s[0:1], s3, v75, v[4:5]
	v_add_u32_e32 v9, 0x348, v74
	v_mad_u64_u32 v[7:8], s[0:1], s2, v9, 0
	v_add_co_u32_e64 v32, s[0:1], v0, v2
	v_mov_b32_e32 v4, v8
	v_addc_co_u32_e64 v33, s[0:1], v1, v3, s[0:1]
	v_lshlrev_b64 v[2:3], 4, v[5:6]
	v_mad_u64_u32 v[4:5], s[0:1], s3, v9, v[4:5]
	v_add_u32_e32 v9, 0x5a0, v74
	v_mad_u64_u32 v[5:6], s[0:1], s2, v9, 0
	v_add_co_u32_e64 v34, s[0:1], v0, v2
	v_mov_b32_e32 v8, v4
	v_mov_b32_e32 v4, v6
	v_addc_co_u32_e64 v35, s[0:1], v1, v3, s[0:1]
	v_lshlrev_b64 v[2:3], 4, v[7:8]
	v_mad_u64_u32 v[6:7], s[0:1], s3, v9, v[4:5]
	v_add_u32_e32 v9, 0x7f8, v74
	v_mad_u64_u32 v[7:8], s[0:1], s2, v9, 0
	v_add_co_u32_e64 v36, s[0:1], v0, v2
	v_mov_b32_e32 v4, v8
	v_addc_co_u32_e64 v37, s[0:1], v1, v3, s[0:1]
	v_lshlrev_b64 v[2:3], 4, v[5:6]
	v_mad_u64_u32 v[4:5], s[0:1], s3, v9, v[4:5]
	v_add_co_u32_e64 v46, s[0:1], v0, v2
	v_mov_b32_e32 v8, v4
	v_addc_co_u32_e64 v47, s[0:1], v1, v3, s[0:1]
	v_lshlrev_b64 v[2:3], 4, v[7:8]
	v_add_co_u32_e64 v48, s[0:1], v0, v2
	v_addc_co_u32_e64 v49, s[0:1], v1, v3, s[0:1]
	global_load_dwordx4 v[2:5], v[26:27], off
	global_load_dwordx4 v[10:13], v[28:29], off
	global_load_dwordx4 v[22:25], v[30:31], off
	global_load_dwordx4 v[38:41], v[32:33], off
	global_load_dwordx4 v[6:9], v[34:35], off
	global_load_dwordx4 v[14:17], v[36:37], off
	global_load_dwordx4 v[18:21], v[46:47], off
	global_load_dwordx4 v[42:45], v[48:49], off
	s_movk_i32 s0, 0x78
	v_cmp_gt_u32_e64 s[0:1], s0, v74
                                        ; implicit-def: $vgpr26_vgpr27
                                        ; implicit-def: $vgpr46_vgpr47
                                        ; implicit-def: $vgpr34_vgpr35
                                        ; implicit-def: $vgpr30_vgpr31
	s_and_saveexec_b64 s[6:7], s[0:1]
	s_cbranch_execz .LBB0_14
; %bb.13:
	v_add_u32_e32 v30, 0x1e0, v74
	v_add_u32_e32 v32, 0x438, v74
	v_mad_u64_u32 v[26:27], s[0:1], s2, v30, 0
	v_mad_u64_u32 v[28:29], s[0:1], s2, v32, 0
	;; [unrolled: 1-line block ×3, first 2 shown]
	v_mov_b32_e32 v27, v30
	v_mad_u64_u32 v[29:30], s[0:1], s3, v32, v[29:30]
	v_lshlrev_b64 v[26:27], 4, v[26:27]
	v_add_co_u32_e64 v34, s[0:1], v0, v26
	v_addc_co_u32_e64 v35, s[0:1], v1, v27, s[0:1]
	v_lshlrev_b64 v[26:27], 4, v[28:29]
	v_add_u32_e32 v28, 0x690, v74
	v_mad_u64_u32 v[36:37], s[0:1], s2, v28, 0
	v_add_co_u32_e64 v46, s[0:1], v0, v26
	v_mov_b32_e32 v26, v37
	v_addc_co_u32_e64 v47, s[0:1], v1, v27, s[0:1]
	v_mad_u64_u32 v[48:49], s[0:1], s3, v28, v[26:27]
	v_add_u32_e32 v49, 0x8e8, v74
	v_mad_u64_u32 v[52:53], s[0:1], s2, v49, 0
	v_mov_b32_e32 v37, v48
	global_load_dwordx4 v[26:29], v[34:35], off
	global_load_dwordx4 v[30:33], v[46:47], off
	v_lshlrev_b64 v[34:35], 4, v[36:37]
	v_mov_b32_e32 v36, v53
	v_mad_u64_u32 v[36:37], s[0:1], s3, v49, v[36:37]
	v_add_co_u32_e64 v54, s[0:1], v0, v34
	v_mov_b32_e32 v53, v36
	v_addc_co_u32_e64 v55, s[0:1], v1, v35, s[0:1]
	v_lshlrev_b64 v[34:35], 4, v[52:53]
	v_add_co_u32_e64 v0, s[0:1], v0, v34
	v_addc_co_u32_e64 v1, s[0:1], v1, v35, s[0:1]
	global_load_dwordx4 v[34:37], v[54:55], off
	global_load_dwordx4 v[46:49], v[0:1], off
.LBB0_14:
	s_or_b64 exec, exec, s[6:7]
.LBB0_15:
	s_or_b64 exec, exec, s[4:5]
	s_waitcnt vmcnt(5)
	v_add_f64 v[0:1], v[2:3], -v[22:23]
	s_waitcnt vmcnt(4)
	v_add_f64 v[22:23], v[10:11], -v[38:39]
	;; [unrolled: 2-line block ×4, first 2 shown]
	v_add_f64 v[40:41], v[12:13], -v[40:41]
	v_add_f64 v[38:39], v[16:17], -v[44:45]
	s_movk_i32 s0, 0x78
	v_cmp_gt_u32_e64 s[0:1], s0, v74
	v_fma_f64 v[2:3], v[2:3], 2.0, -v[0:1]
	v_fma_f64 v[10:11], v[10:11], 2.0, -v[22:23]
	;; [unrolled: 1-line block ×4, first 2 shown]
	v_add_f64 v[14:15], v[26:27], -v[34:35]
	v_add_f64 v[6:7], v[30:31], -v[46:47]
	;; [unrolled: 1-line block ×4, first 2 shown]
	v_lshl_add_u32 v35, v74, 5, 0
	v_add_f64 v[42:43], v[2:3], -v[10:11]
	v_add_f64 v[10:11], v[32:33], -v[48:49]
	;; [unrolled: 1-line block ×3, first 2 shown]
	v_fma_f64 v[26:27], v[26:27], 2.0, -v[14:15]
	v_fma_f64 v[30:31], v[30:31], 2.0, -v[6:7]
	;; [unrolled: 1-line block ×4, first 2 shown]
	v_lshl_add_u32 v34, v75, 5, 0
	v_fma_f64 v[46:47], v[2:3], 2.0, -v[42:43]
	v_add_f64 v[2:3], v[14:15], -v[10:11]
	v_fma_f64 v[56:57], v[60:61], 2.0, -v[52:53]
	ds_write_b128 v35, v[42:45] offset:16
	ds_write_b128 v34, v[52:55] offset:16
	ds_write_b128 v35, v[46:49]
	ds_write_b128 v34, v[56:59]
	v_add_f64 v[0:1], v[26:27], -v[30:31]
	v_add_u32_e32 v30, 0x1e0, v74
	v_lshl_add_u32 v42, v30, 5, 0
	s_and_saveexec_b64 s[4:5], s[0:1]
	s_cbranch_execz .LBB0_17
; %bb.16:
	v_fma_f64 v[45:46], v[14:15], 2.0, -v[2:3]
	v_fma_f64 v[43:44], v[26:27], 2.0, -v[0:1]
	ds_write_b128 v42, v[43:46]
	ds_write_b128 v42, v[0:3] offset:16
.LBB0_17:
	s_or_b64 exec, exec, s[4:5]
	v_add_f64 v[20:21], v[8:9], -v[20:21]
	v_add_f64 v[14:15], v[4:5], -v[24:25]
	v_fma_f64 v[16:17], v[16:17], 2.0, -v[38:39]
	v_fma_f64 v[12:13], v[12:13], 2.0, -v[40:41]
	v_add_f64 v[30:31], v[28:29], -v[36:37]
	v_fma_f64 v[10:11], v[32:33], 2.0, -v[10:11]
	s_movk_i32 s4, 0xffe8
	v_mad_i32_i24 v40, v74, s4, v35
	v_fma_f64 v[8:9], v[8:9], 2.0, -v[20:21]
	v_fma_f64 v[24:25], v[4:5], 2.0, -v[14:15]
	v_add_f64 v[38:39], v[22:23], v[14:15]
	v_add_f64 v[45:46], v[18:19], v[20:21]
	v_fma_f64 v[28:29], v[28:29], 2.0, -v[30:31]
	s_waitcnt lgkmcnt(0)
	s_barrier
	v_add_f64 v[43:44], v[8:9], -v[16:17]
	v_add_f64 v[36:37], v[24:25], -v[12:13]
	v_add_f64 v[6:7], v[6:7], v[30:31]
	v_fma_f64 v[54:55], v[14:15], 2.0, -v[38:39]
	v_fma_f64 v[58:59], v[20:21], 2.0, -v[45:46]
	v_add_f64 v[4:5], v[28:29], -v[10:11]
	v_mul_i32_i24_e32 v33, 0xffffffe8, v74
	v_mul_i32_i24_e32 v32, 0xffffffe8, v75
	v_fma_f64 v[56:57], v[8:9], 2.0, -v[43:44]
	v_mad_i32_i24 v8, v75, s4, v34
	v_fma_f64 v[52:53], v[24:25], 2.0, -v[36:37]
	ds_read_b64 v[24:25], v40
	ds_read_b64 v[26:27], v8
	v_add_u32_e32 v8, 0xf00, v40
	ds_read2_b64 v[20:23], v8 offset1:240
	v_add_u32_e32 v8, 0x1e00, v40
	ds_read2_b64 v[16:19], v8 offset1:240
	;; [unrolled: 2-line block ×4, first 2 shown]
	s_waitcnt lgkmcnt(0)
	s_barrier
	ds_write_b128 v35, v[52:55]
	ds_write_b128 v35, v[36:39] offset:16
	ds_write_b128 v34, v[56:59]
	ds_write_b128 v34, v[43:46] offset:16
	s_and_saveexec_b64 s[4:5], s[0:1]
	s_cbranch_execz .LBB0_19
; %bb.18:
	v_fma_f64 v[28:29], v[28:29], 2.0, -v[4:5]
	v_fma_f64 v[30:31], v[30:31], 2.0, -v[6:7]
	ds_write_b128 v42, v[28:31]
	ds_write_b128 v42, v[4:7] offset:16
.LBB0_19:
	s_or_b64 exec, exec, s[4:5]
	v_and_b32_e32 v28, 3, v74
	v_mul_u32_u24_e32 v29, 9, v28
	v_lshlrev_b32_e32 v29, 4, v29
	s_waitcnt lgkmcnt(0)
	s_barrier
	global_load_dwordx4 v[36:39], v29, s[8:9] offset:16
	global_load_dwordx4 v[40:43], v29, s[8:9] offset:32
	;; [unrolled: 1-line block ×7, first 2 shown]
	global_load_dwordx4 v[68:71], v29, s[8:9]
	global_load_dwordx4 v[78:81], v29, s[8:9] offset:128
	v_add_u32_e32 v76, v35, v33
	v_add_u32_e32 v77, v34, v32
	;; [unrolled: 1-line block ×6, first 2 shown]
	ds_read_b64 v[48:49], v77
	ds_read_b64 v[72:73], v76
	ds_read2_b64 v[31:34], v112 offset1:240
	ds_read2_b64 v[82:85], v113 offset1:240
	;; [unrolled: 1-line block ×4, first 2 shown]
	s_mov_b32 s10, 0x134454ff
	s_mov_b32 s11, 0x3fee6f0e
	;; [unrolled: 1-line block ×12, first 2 shown]
	s_movk_i32 s0, 0xcd
	s_waitcnt vmcnt(0) lgkmcnt(0)
	s_barrier
	v_mul_f64 v[94:95], v[31:32], v[38:39]
	v_mul_f64 v[38:39], v[20:21], v[38:39]
	;; [unrolled: 1-line block ×14, first 2 shown]
	v_fma_f64 v[20:21], v[20:21], v[36:37], -v[94:95]
	v_fma_f64 v[31:32], v[31:32], v[36:37], v[38:39]
	v_fma_f64 v[16:17], v[16:17], v[44:45], -v[98:99]
	v_fma_f64 v[12:13], v[12:13], v[56:57], -v[102:103]
	;; [unrolled: 1-line block ×3, first 2 shown]
	v_mul_f64 v[104:105], v[88:89], v[62:63]
	v_mul_f64 v[62:63], v[14:15], v[62:63]
	;; [unrolled: 1-line block ×4, first 2 shown]
	v_fma_f64 v[22:23], v[22:23], v[40:41], -v[96:97]
	v_fma_f64 v[33:34], v[33:34], v[40:41], v[42:43]
	v_fma_f64 v[35:36], v[82:83], v[44:45], v[46:47]
	v_fma_f64 v[18:19], v[18:19], v[52:53], -v[100:101]
	v_fma_f64 v[37:38], v[84:85], v[52:53], v[54:55]
	v_fma_f64 v[39:40], v[86:87], v[56:57], v[58:59]
	;; [unrolled: 3-line block ×3, first 2 shown]
	v_add_f64 v[52:53], v[20:21], -v[16:17]
	v_add_f64 v[54:55], v[8:9], -v[12:13]
	v_add_f64 v[56:57], v[16:17], v[12:13]
	v_add_f64 v[58:59], v[20:21], v[8:9]
	;; [unrolled: 1-line block ×4, first 2 shown]
	v_fma_f64 v[14:15], v[14:15], v[60:61], -v[104:105]
	v_fma_f64 v[41:42], v[88:89], v[60:61], v[62:63]
	v_fma_f64 v[47:48], v[92:93], v[78:79], v[80:81]
	v_add_f64 v[60:61], v[16:17], -v[20:21]
	v_add_f64 v[62:63], v[12:13], -v[8:9]
	;; [unrolled: 1-line block ×5, first 2 shown]
	v_add_f64 v[80:81], v[35:36], v[39:40]
	v_add_f64 v[82:83], v[16:17], -v[12:13]
	v_add_f64 v[84:85], v[31:32], v[45:46]
	v_add_f64 v[88:89], v[35:36], -v[39:40]
	v_add_f64 v[31:32], v[31:32], -v[45:46]
	v_add_f64 v[52:53], v[52:53], v[54:55]
	v_fma_f64 v[54:55], v[56:57], -0.5, v[24:25]
	v_fma_f64 v[24:25], v[58:59], -0.5, v[24:25]
	v_add_f64 v[16:17], v[68:69], v[16:17]
	v_add_f64 v[35:36], v[86:87], v[35:36]
	v_fma_f64 v[10:11], v[10:11], v[78:79], -v[110:111]
	v_add_f64 v[78:79], v[39:40], -v[45:46]
	v_add_f64 v[20:21], v[20:21], -v[8:9]
	v_add_f64 v[90:91], v[18:19], v[14:15]
	v_add_f64 v[56:57], v[60:61], v[62:63]
	;; [unrolled: 1-line block ×3, first 2 shown]
	v_fma_f64 v[62:63], v[80:81], -0.5, v[72:73]
	v_fma_f64 v[64:65], v[84:85], -0.5, v[72:73]
	v_add_f64 v[12:13], v[16:17], v[12:13]
	v_fma_f64 v[16:17], v[31:32], s[10:11], v[54:55]
	v_fma_f64 v[54:55], v[31:32], s[4:5], v[54:55]
	v_add_f64 v[35:36], v[35:36], v[39:40]
	v_fma_f64 v[39:40], v[88:89], s[4:5], v[24:25]
	v_fma_f64 v[24:25], v[88:89], s[10:11], v[24:25]
	v_add_f64 v[92:93], v[33:34], -v[47:48]
	v_add_f64 v[98:99], v[22:23], v[10:11]
	v_add_f64 v[60:61], v[70:71], v[78:79]
	v_fma_f64 v[66:67], v[90:91], -0.5, v[26:27]
	v_fma_f64 v[68:69], v[20:21], s[4:5], v[62:63]
	v_fma_f64 v[62:63], v[20:21], s[10:11], v[62:63]
	;; [unrolled: 1-line block ×4, first 2 shown]
	v_add_f64 v[8:9], v[12:13], v[8:9]
	v_fma_f64 v[12:13], v[88:89], s[14:15], v[16:17]
	v_fma_f64 v[16:17], v[88:89], s[6:7], v[54:55]
	;; [unrolled: 1-line block ×5, first 2 shown]
	v_add_f64 v[31:32], v[35:36], v[45:46]
	v_fma_f64 v[45:46], v[82:83], s[14:15], v[62:63]
	v_fma_f64 v[54:55], v[20:21], s[6:7], v[70:71]
	;; [unrolled: 1-line block ×7, first 2 shown]
	v_add_f64 v[52:53], v[37:38], -v[41:42]
	v_fma_f64 v[56:57], v[92:93], s[4:5], v[66:67]
	v_fma_f64 v[62:63], v[98:99], -0.5, v[26:27]
	v_add_f64 v[66:67], v[37:38], v[41:42]
	v_fma_f64 v[54:55], v[60:61], s[16:17], v[54:55]
	v_fma_f64 v[20:21], v[60:61], s[16:17], v[20:21]
	v_add_f64 v[26:27], v[26:27], v[22:23]
	v_add_f64 v[94:95], v[22:23], -v[18:19]
	v_fma_f64 v[60:61], v[52:53], s[14:15], v[72:73]
	v_fma_f64 v[56:57], v[52:53], s[6:7], v[56:57]
	;; [unrolled: 1-line block ×4, first 2 shown]
	v_add_f64 v[62:63], v[33:34], v[47:48]
	v_fma_f64 v[35:36], v[82:83], s[6:7], v[68:69]
	v_add_f64 v[68:69], v[18:19], -v[22:23]
	v_add_f64 v[22:23], v[22:23], -v[10:11]
	v_fma_f64 v[66:67], v[66:67], -0.5, v[43:44]
	v_add_f64 v[70:71], v[14:15], -v[10:11]
	v_add_f64 v[26:27], v[26:27], v[18:19]
	v_add_f64 v[18:19], v[18:19], -v[14:15]
	v_fma_f64 v[62:63], v[62:63], -0.5, v[43:44]
	v_add_f64 v[72:73], v[33:34], -v[37:38]
	v_add_f64 v[78:79], v[47:48], -v[41:42]
	v_add_f64 v[43:44], v[43:44], v[33:34]
	v_fma_f64 v[80:81], v[22:23], s[4:5], v[66:67]
	v_add_f64 v[96:97], v[10:11], -v[14:15]
	v_add_f64 v[68:69], v[68:69], v[70:71]
	v_add_f64 v[33:34], v[37:38], -v[33:34]
	v_add_f64 v[70:71], v[41:42], -v[47:48]
	v_add_f64 v[14:15], v[26:27], v[14:15]
	v_fma_f64 v[26:27], v[18:19], s[10:11], v[62:63]
	v_add_f64 v[72:73], v[72:73], v[78:79]
	v_add_f64 v[37:38], v[43:44], v[37:38]
	v_fma_f64 v[43:44], v[22:23], s[10:11], v[66:67]
	v_fma_f64 v[66:67], v[18:19], s[6:7], v[80:81]
	;; [unrolled: 1-line block ×3, first 2 shown]
	v_add_f64 v[33:34], v[33:34], v[70:71]
	v_fma_f64 v[52:53], v[92:93], s[6:7], v[52:53]
	v_fma_f64 v[26:27], v[22:23], s[6:7], v[26:27]
	;; [unrolled: 1-line block ×4, first 2 shown]
	v_add_f64 v[58:59], v[94:95], v[96:97]
	v_add_f64 v[10:11], v[14:15], v[10:11]
	;; [unrolled: 1-line block ×3, first 2 shown]
	v_fma_f64 v[41:42], v[72:73], s[16:17], v[66:67]
	v_fma_f64 v[64:65], v[92:93], s[14:15], v[64:65]
	;; [unrolled: 1-line block ×8, first 2 shown]
	v_add_f64 v[14:15], v[14:15], v[47:48]
	v_mul_f64 v[47:48], v[41:42], s[14:15]
	v_fma_f64 v[56:57], v[68:69], s[16:17], v[64:65]
	v_fma_f64 v[22:23], v[33:34], s[16:17], v[22:23]
	v_mul_f64 v[33:34], v[26:27], s[10:11]
	v_mul_f64 v[58:59], v[43:44], s[16:17]
	v_fma_f64 v[18:19], v[72:73], s[16:17], v[18:19]
	v_mul_f64 v[60:61], v[52:53], s[18:19]
	v_add_f64 v[62:63], v[8:9], v[10:11]
	v_fma_f64 v[47:48], v[37:38], s[18:19], v[47:48]
	v_mul_f64 v[37:38], v[37:38], s[6:7]
	v_add_f64 v[8:9], v[8:9], -v[10:11]
	v_fma_f64 v[33:34], v[56:57], s[16:17], v[33:34]
	v_mul_f64 v[56:57], v[56:57], s[4:5]
	v_fma_f64 v[58:59], v[22:23], s[10:11], -v[58:59]
	v_mul_f64 v[22:23], v[22:23], s[16:17]
	v_fma_f64 v[60:61], v[18:19], s[14:15], -v[60:61]
	v_mul_f64 v[18:19], v[18:19], s[18:19]
	v_fma_f64 v[37:38], v[41:42], s[18:19], v[37:38]
	v_add_f64 v[64:65], v[12:13], v[47:48]
	v_add_f64 v[41:42], v[39:40], v[33:34]
	v_fma_f64 v[26:27], v[26:27], s[16:17], v[56:57]
	v_add_f64 v[56:57], v[24:25], v[58:59]
	v_fma_f64 v[22:23], v[43:44], s[4:5], -v[22:23]
	v_add_f64 v[10:11], v[12:13], -v[47:48]
	v_fma_f64 v[18:19], v[52:53], s[6:7], -v[18:19]
	v_add_f64 v[52:53], v[31:32], v[14:15]
	v_add_f64 v[66:67], v[35:36], v[37:38]
	v_add_f64 v[12:13], v[39:40], -v[33:34]
	v_add_f64 v[47:48], v[54:55], v[26:27]
	v_add_f64 v[43:44], v[16:17], v[60:61]
	;; [unrolled: 1-line block ×3, first 2 shown]
	v_add_f64 v[24:25], v[24:25], -v[58:59]
	v_add_f64 v[58:59], v[45:46], v[18:19]
	v_add_f64 v[14:15], v[31:32], -v[14:15]
	v_add_f64 v[16:17], v[16:17], -v[60:61]
	;; [unrolled: 1-line block ×6, first 2 shown]
	v_lshrrev_b32_e32 v18, 2, v74
	v_mul_u32_u24_e32 v18, 40, v18
	v_or_b32_e32 v18, v18, v28
	v_lshl_add_u32 v28, v18, 3, 0
	ds_write2_b64 v28, v[62:63], v[64:65] offset1:4
	ds_write2_b64 v28, v[41:42], v[56:57] offset0:8 offset1:12
	ds_write2_b64 v28, v[43:44], v[8:9] offset0:16 offset1:20
	;; [unrolled: 1-line block ×4, first 2 shown]
	s_waitcnt lgkmcnt(0)
	s_barrier
	ds_read_b64 v[12:13], v76
	ds_read_b64 v[72:73], v77
	ds_read2_b64 v[16:19], v112 offset1:240
	ds_read2_b64 v[31:34], v113 offset1:240
	;; [unrolled: 1-line block ×4, first 2 shown]
	s_waitcnt lgkmcnt(0)
	s_barrier
	ds_write2_b64 v28, v[52:53], v[66:67] offset1:4
	ds_write2_b64 v28, v[47:48], v[39:40] offset0:8 offset1:12
	ds_write2_b64 v28, v[58:59], v[14:15] offset0:16 offset1:20
	;; [unrolled: 1-line block ×4, first 2 shown]
	v_mul_lo_u16_sdwa v14, v74, s0 dst_sel:DWORD dst_unused:UNUSED_PAD src0_sel:BYTE_0 src1_sel:DWORD
	v_lshrrev_b16_e32 v14, 13, v14
	v_mul_lo_u16_e32 v15, 40, v14
	v_sub_u16_e32 v15, v74, v15
	v_mov_b32_e32 v20, 9
	v_mul_u32_u24_sdwa v20, v15, v20 dst_sel:DWORD dst_unused:UNUSED_PAD src0_sel:BYTE_0 src1_sel:DWORD
	v_lshlrev_b32_e32 v24, 4, v20
	s_waitcnt lgkmcnt(0)
	s_barrier
	global_load_dwordx4 v[20:23], v24, s[8:9] offset:592
	global_load_dwordx4 v[39:42], v24, s[8:9] offset:608
	;; [unrolled: 1-line block ×9, first 2 shown]
	ds_read2_b64 v[82:85], v112 offset1:240
	ds_read2_b64 v[86:89], v113 offset1:240
	;; [unrolled: 1-line block ×3, first 2 shown]
	v_mul_u32_u24_e32 v14, 0xc80, v14
	s_movk_i32 s0, 0xa0
	v_cmp_gt_u32_e64 s[0:1], s0, v74
	s_waitcnt vmcnt(8) lgkmcnt(2)
	v_mul_f64 v[24:25], v[82:83], v[22:23]
	v_mul_f64 v[22:23], v[16:17], v[22:23]
	s_waitcnt vmcnt(7)
	v_mul_f64 v[26:27], v[84:85], v[41:42]
	s_waitcnt vmcnt(5) lgkmcnt(1)
	v_mul_f64 v[47:48], v[88:89], v[54:55]
	v_fma_f64 v[24:25], v[16:17], v[20:21], -v[24:25]
	v_mul_f64 v[16:17], v[18:19], v[41:42]
	v_mul_f64 v[41:42], v[86:87], v[45:46]
	;; [unrolled: 1-line block ×3, first 2 shown]
	v_fma_f64 v[22:23], v[82:83], v[20:21], v[22:23]
	v_fma_f64 v[82:83], v[18:19], v[39:40], -v[26:27]
	v_mul_f64 v[18:19], v[33:34], v[54:55]
	v_fma_f64 v[20:21], v[84:85], v[39:40], v[16:17]
	v_fma_f64 v[26:27], v[31:32], v[43:44], -v[41:42]
	v_fma_f64 v[16:17], v[86:87], v[43:44], v[45:46]
	v_fma_f64 v[32:33], v[33:34], v[52:53], -v[47:48]
	ds_read_b64 v[46:47], v77
	s_waitcnt vmcnt(4) lgkmcnt(1)
	v_mul_f64 v[39:40], v[90:91], v[58:59]
	ds_read2_b64 v[28:31], v29 offset1:240
	ds_read_b64 v[48:49], v76
	v_fma_f64 v[18:19], v[88:89], v[52:53], v[18:19]
	v_mul_f64 v[41:42], v[35:36], v[58:59]
	s_waitcnt vmcnt(3) lgkmcnt(2)
	v_mul_f64 v[43:44], v[46:47], v[62:63]
	s_waitcnt vmcnt(2)
	v_mul_f64 v[52:53], v[92:93], v[66:67]
	s_waitcnt vmcnt(0) lgkmcnt(1)
	v_mul_f64 v[58:59], v[30:31], v[80:81]
	v_mul_f64 v[62:63], v[72:73], v[62:63]
	v_fma_f64 v[54:55], v[35:36], v[56:57], -v[39:40]
	v_mul_f64 v[39:40], v[37:38], v[66:67]
	v_mul_f64 v[66:67], v[10:11], v[80:81]
	;; [unrolled: 1-line block ×3, first 2 shown]
	v_fma_f64 v[72:73], v[72:73], v[60:61], -v[43:44]
	v_fma_f64 v[44:45], v[90:91], v[56:57], v[41:42]
	v_fma_f64 v[36:37], v[37:38], v[64:65], -v[52:53]
	v_fma_f64 v[10:11], v[10:11], v[78:79], -v[58:59]
	v_fma_f64 v[52:53], v[46:47], v[60:61], v[62:63]
	v_fma_f64 v[42:43], v[92:93], v[64:65], v[39:40]
	;; [unrolled: 1-line block ×3, first 2 shown]
	v_fma_f64 v[56:57], v[8:9], v[68:69], -v[34:35]
	v_add_f64 v[30:31], v[72:73], v[82:83]
	v_mul_f64 v[8:9], v[8:9], v[70:71]
	v_add_f64 v[58:59], v[82:83], -v[32:33]
	v_add_f64 v[60:61], v[10:11], -v[36:37]
	;; [unrolled: 1-line block ×6, first 2 shown]
	v_add_f64 v[30:31], v[30:31], v[32:33]
	v_add_f64 v[70:71], v[18:19], v[42:43]
	v_fma_f64 v[46:47], v[28:29], v[68:69], v[8:9]
	v_add_f64 v[28:29], v[58:59], v[60:61]
	v_add_f64 v[60:61], v[82:83], v[10:11]
	;; [unrolled: 1-line block ×7, first 2 shown]
	v_fma_f64 v[58:59], v[70:71], -0.5, v[52:53]
	v_add_f64 v[62:63], v[82:83], -v[10:11]
	v_add_f64 v[64:65], v[32:33], -v[36:37]
	;; [unrolled: 1-line block ×5, first 2 shown]
	v_fma_f64 v[60:61], v[60:61], -0.5, v[72:73]
	v_add_f64 v[30:31], v[30:31], v[10:11]
	v_add_f64 v[32:33], v[32:33], -v[82:83]
	v_add_f64 v[10:11], v[36:37], -v[10:11]
	v_fma_f64 v[36:37], v[68:69], -0.5, v[52:53]
	v_add_f64 v[68:69], v[24:25], v[56:57]
	v_add_f64 v[78:79], v[26:27], v[54:55]
	v_fma_f64 v[38:39], v[66:67], -0.5, v[72:73]
	v_add_f64 v[66:67], v[20:21], -v[40:41]
	v_add_f64 v[72:73], v[18:19], -v[20:21]
	;; [unrolled: 1-line block ×3, first 2 shown]
	v_add_f64 v[80:81], v[80:81], v[84:85]
	v_fma_f64 v[84:85], v[70:71], s[4:5], v[60:61]
	v_fma_f64 v[60:61], v[70:71], s[10:11], v[60:61]
	v_add_f64 v[88:89], v[16:17], -v[44:45]
	v_fma_f64 v[68:69], v[68:69], -0.5, v[12:13]
	v_add_f64 v[10:11], v[32:33], v[10:11]
	v_fma_f64 v[32:33], v[64:65], s[10:11], v[36:37]
	v_fma_f64 v[36:37], v[64:65], s[4:5], v[36:37]
	v_add_f64 v[90:91], v[12:13], v[24:25]
	v_fma_f64 v[86:87], v[66:67], s[10:11], v[38:39]
	v_add_f64 v[82:83], v[72:73], v[82:83]
	v_fma_f64 v[72:73], v[66:67], s[14:15], v[84:85]
	v_fma_f64 v[60:61], v[66:67], s[6:7], v[60:61]
	;; [unrolled: 1-line block ×4, first 2 shown]
	v_add_f64 v[84:85], v[22:23], -v[46:47]
	v_fma_f64 v[68:69], v[88:89], s[10:11], v[68:69]
	v_fma_f64 v[12:13], v[78:79], -0.5, v[12:13]
	v_fma_f64 v[78:79], v[62:63], s[4:5], v[58:59]
	v_fma_f64 v[32:33], v[62:63], s[6:7], v[32:33]
	;; [unrolled: 1-line block ×4, first 2 shown]
	v_add_f64 v[62:63], v[90:91], v[26:27]
	v_fma_f64 v[92:93], v[84:85], s[14:15], v[66:67]
	v_fma_f64 v[94:95], v[84:85], s[6:7], v[68:69]
	v_fma_f64 v[66:67], v[84:85], s[10:11], v[12:13]
	v_fma_f64 v[12:13], v[84:85], s[4:5], v[12:13]
	v_fma_f64 v[68:69], v[64:65], s[6:7], v[78:79]
	v_fma_f64 v[84:85], v[70:71], s[14:15], v[86:87]
	v_fma_f64 v[38:39], v[70:71], s[6:7], v[38:39]
	v_fma_f64 v[86:87], v[64:65], s[14:15], v[58:59]
	v_add_f64 v[64:65], v[62:63], v[54:55]
	v_mov_b32_e32 v58, 3
	v_lshlrev_b32_sdwa v15, v58, v15 dst_sel:DWORD dst_unused:UNUSED_PAD src0_sel:DWORD src1_sel:BYTE_0
	v_add3_u32 v78, 0, v14, v15
	v_fma_f64 v[58:59], v[34:35], s[16:17], v[68:69]
	v_fma_f64 v[62:63], v[82:83], s[16:17], v[32:33]
	;; [unrolled: 1-line block ×4, first 2 shown]
	v_add_f64 v[14:15], v[64:65], v[56:57]
	v_fma_f64 v[64:65], v[28:29], s[16:17], v[38:39]
	v_fma_f64 v[70:71], v[28:29], s[16:17], v[84:85]
	;; [unrolled: 1-line block ×3, first 2 shown]
	v_mul_f64 v[28:29], v[58:59], s[14:15]
	v_fma_f64 v[66:67], v[82:83], s[16:17], v[36:37]
	v_mul_f64 v[10:11], v[62:63], s[10:11]
	v_mul_f64 v[32:33], v[60:61], s[16:17]
	v_fma_f64 v[12:13], v[88:89], s[6:7], v[12:13]
	v_fma_f64 v[68:69], v[34:35], s[16:17], v[86:87]
	v_mul_f64 v[34:35], v[64:65], s[18:19]
	v_fma_f64 v[36:37], v[8:9], s[16:17], v[90:91]
	v_fma_f64 v[28:29], v[70:71], s[18:19], v[28:29]
	;; [unrolled: 1-line block ×5, first 2 shown]
	v_fma_f64 v[32:33], v[66:67], s[10:11], -v[32:33]
	v_fma_f64 v[12:13], v[8:9], s[16:17], v[12:13]
	v_fma_f64 v[34:35], v[68:69], s[14:15], -v[34:35]
	v_add_f64 v[81:82], v[14:15], v[30:31]
	v_add_f64 v[83:84], v[36:37], v[28:29]
	v_add_f64 v[30:31], v[14:15], -v[30:31]
	v_add_f64 v[85:86], v[38:39], v[10:11]
	v_add_f64 v[8:9], v[36:37], -v[28:29]
	v_add_f64 v[10:11], v[38:39], -v[10:11]
	;; [unrolled: 1-line block ×3, first 2 shown]
	v_add_f64 v[36:37], v[12:13], v[34:35]
	v_add_f64 v[12:13], v[12:13], -v[34:35]
	v_add_f64 v[28:29], v[79:80], v[32:33]
	v_add_u32_e32 v79, 0x400, v78
	v_add_u32_e32 v80, 0x800, v78
	s_waitcnt lgkmcnt(0)
	s_barrier
	ds_write2_b64 v78, v[81:82], v[83:84] offset1:40
	ds_write2_b64 v78, v[85:86], v[28:29] offset0:80 offset1:120
	ds_write2_b64 v78, v[36:37], v[30:31] offset0:160 offset1:200
	;; [unrolled: 1-line block ×4, first 2 shown]
	s_waitcnt lgkmcnt(0)
	s_barrier
	ds_read_b64 v[28:29], v76
	ds_read_b64 v[30:31], v76 offset:3200
	ds_read_b64 v[38:39], v76 offset:6400
	;; [unrolled: 1-line block ×5, first 2 shown]
	s_and_saveexec_b64 s[20:21], s[0:1]
	s_cbranch_execz .LBB0_21
; %bb.20:
	ds_read_b64 v[10:11], v76 offset:5120
	ds_read_b64 v[14:15], v76 offset:8320
	;; [unrolled: 1-line block ×4, first 2 shown]
	ds_read_b64 v[8:9], v77
	ds_read_b64 v[2:3], v76 offset:17920
.LBB0_21:
	s_or_b64 exec, exec, s[20:21]
	v_add_f64 v[81:82], v[16:17], v[44:45]
	v_add_f64 v[83:84], v[22:23], v[46:47]
	;; [unrolled: 1-line block ×3, first 2 shown]
	v_add_f64 v[24:25], v[24:25], -v[56:57]
	v_add_f64 v[26:27], v[26:27], -v[54:55]
	v_add_f64 v[20:21], v[52:53], v[20:21]
	v_add_f64 v[54:55], v[22:23], -v[16:17]
	v_add_f64 v[56:57], v[46:47], -v[44:45]
	v_fma_f64 v[81:82], v[81:82], -0.5, v[48:49]
	v_fma_f64 v[48:49], v[83:84], -0.5, v[48:49]
	v_add_f64 v[22:23], v[16:17], -v[22:23]
	v_add_f64 v[83:84], v[44:45], -v[46:47]
	v_mul_f64 v[52:53], v[70:71], s[6:7]
	v_mul_f64 v[70:71], v[72:73], s[4:5]
	v_add_f64 v[16:17], v[85:86], v[16:17]
	v_add_f64 v[18:19], v[20:21], v[18:19]
	v_fma_f64 v[72:73], v[24:25], s[4:5], v[81:82]
	v_fma_f64 v[81:82], v[24:25], s[10:11], v[81:82]
	;; [unrolled: 1-line block ×4, first 2 shown]
	v_add_f64 v[20:21], v[54:55], v[56:57]
	v_add_f64 v[22:23], v[22:23], v[83:84]
	;; [unrolled: 1-line block ×4, first 2 shown]
	v_fma_f64 v[44:45], v[26:27], s[6:7], v[72:73]
	v_fma_f64 v[26:27], v[26:27], s[14:15], v[81:82]
	;; [unrolled: 1-line block ×4, first 2 shown]
	v_mul_f64 v[42:43], v[66:67], s[16:17]
	v_mul_f64 v[48:49], v[68:69], s[18:19]
	v_add_f64 v[16:17], v[16:17], v[46:47]
	v_add_f64 v[18:19], v[18:19], v[40:41]
	v_fma_f64 v[44:45], v[20:21], s[16:17], v[44:45]
	v_fma_f64 v[20:21], v[20:21], s[16:17], v[26:27]
	;; [unrolled: 1-line block ×6, first 2 shown]
	v_fma_f64 v[42:43], v[60:61], s[4:5], -v[42:43]
	v_fma_f64 v[46:47], v[64:65], s[6:7], -v[48:49]
	v_add_f64 v[48:49], v[16:17], v[18:19]
	v_add_f64 v[60:61], v[16:17], -v[18:19]
	s_waitcnt lgkmcnt(0)
	s_barrier
	v_add_f64 v[52:53], v[44:45], v[24:25]
	v_add_f64 v[54:55], v[26:27], v[40:41]
	;; [unrolled: 1-line block ×4, first 2 shown]
	v_add_f64 v[16:17], v[44:45], -v[24:25]
	v_add_f64 v[18:19], v[26:27], -v[40:41]
	;; [unrolled: 1-line block ×4, first 2 shown]
	ds_write2_b64 v78, v[48:49], v[52:53] offset1:40
	ds_write2_b64 v78, v[54:55], v[56:57] offset0:80 offset1:120
	ds_write2_b64 v78, v[58:59], v[60:61] offset0:160 offset1:200
	;; [unrolled: 1-line block ×4, first 2 shown]
	s_waitcnt lgkmcnt(0)
	s_barrier
	ds_read_b64 v[24:25], v76
	ds_read_b64 v[26:27], v76 offset:3200
	ds_read_b64 v[44:45], v76 offset:6400
	;; [unrolled: 1-line block ×5, first 2 shown]
	s_and_saveexec_b64 s[4:5], s[0:1]
	s_cbranch_execz .LBB0_23
; %bb.22:
	ds_read_b64 v[18:19], v76 offset:5120
	ds_read_b64 v[22:23], v76 offset:8320
	;; [unrolled: 1-line block ×4, first 2 shown]
	ds_read_b64 v[16:17], v77
	ds_read_b64 v[6:7], v76 offset:17920
.LBB0_23:
	s_or_b64 exec, exec, s[4:5]
	s_and_saveexec_b64 s[4:5], vcc
	s_cbranch_execz .LBB0_26
; %bb.24:
	v_mul_u32_u24_e32 v48, 5, v74
	v_lshlrev_b32_e32 v48, 4, v48
	v_mov_b32_e32 v49, s9
	v_add_co_u32_e32 v60, vcc, s8, v48
	v_addc_co_u32_e32 v64, vcc, 0, v49, vcc
	v_add_co_u32_e32 v48, vcc, 0x18c0, v60
	v_addc_co_u32_e32 v49, vcc, 0, v64, vcc
	global_load_dwordx4 v[52:55], v[48:49], off offset:32
	global_load_dwordx4 v[56:59], v[48:49], off offset:16
	v_add_co_u32_e32 v72, vcc, 0x1000, v60
	v_addc_co_u32_e32 v73, vcc, 0, v64, vcc
	global_load_dwordx4 v[60:63], v[48:49], off offset:48
	global_load_dwordx4 v[64:67], v[72:73], off offset:2304
	;; [unrolled: 1-line block ×3, first 2 shown]
	v_mad_u64_u32 v[72:73], s[14:15], s2, v74, 0
	v_mov_b32_e32 v76, s13
	v_add_u32_e32 v86, 0x190, v74
	v_add_co_u32_e32 v49, vcc, s12, v50
	v_add_u32_e32 v87, 0x320, v74
	v_addc_co_u32_e32 v50, vcc, v76, v51, vcc
	v_mad_u64_u32 v[76:77], s[12:13], s2, v86, 0
	v_add_u32_e32 v88, 0x4b0, v74
	v_mad_u64_u32 v[78:79], s[12:13], s2, v87, 0
	v_mad_u64_u32 v[80:81], s[12:13], s2, v88, 0
	v_mov_b32_e32 v51, v73
	v_mov_b32_e32 v73, v79
	s_mov_b32 s4, 0xe8584caa
	s_mov_b32 s5, 0x3febb67a
	;; [unrolled: 1-line block ×4, first 2 shown]
	v_add_u32_e32 v94, 0x640, v74
	v_mad_u64_u32 v[82:83], s[12:13], s2, v94, 0
	v_mov_b32_e32 v48, 0
	s_movk_i32 s10, 0x1000
	s_waitcnt vmcnt(4)
	v_mad_u64_u32 v[84:85], s[12:13], s3, v74, v[51:52]
	v_mov_b32_e32 v51, v77
	v_mad_u64_u32 v[85:86], s[12:13], s3, v86, v[51:52]
	v_mov_b32_e32 v77, v81
	v_mad_u64_u32 v[86:87], s[12:13], s3, v87, v[73:74]
	v_mad_u64_u32 v[87:88], s[12:13], s3, v88, v[77:78]
	v_mov_b32_e32 v79, v86
	s_waitcnt vmcnt(1)
	v_mul_f64 v[90:91], v[34:35], v[66:67]
	v_mov_b32_e32 v81, v87
	s_waitcnt lgkmcnt(2)
	v_mul_f64 v[86:87], v[42:43], v[54:55]
	v_mul_f64 v[54:55], v[36:37], v[54:55]
	s_waitcnt lgkmcnt(0)
	v_mul_f64 v[66:67], v[46:47], v[66:67]
	v_mov_b32_e32 v73, v84
	v_mov_b32_e32 v77, v85
	v_mul_f64 v[84:85], v[44:45], v[58:59]
	v_mul_f64 v[58:59], v[38:39], v[58:59]
	;; [unrolled: 1-line block ×4, first 2 shown]
	s_waitcnt vmcnt(0)
	v_mul_f64 v[92:93], v[26:27], v[70:71]
	v_mul_f64 v[70:71], v[30:31], v[70:71]
	v_fma_f64 v[36:37], v[36:37], v[52:53], -v[86:87]
	v_fma_f64 v[42:43], v[42:43], v[52:53], v[54:55]
	v_fma_f64 v[46:47], v[46:47], v[64:65], v[90:91]
	v_fma_f64 v[34:35], v[34:35], v[64:65], -v[66:67]
	v_fma_f64 v[38:39], v[38:39], v[56:57], -v[84:85]
	v_fma_f64 v[44:45], v[44:45], v[56:57], v[58:59]
	v_fma_f64 v[40:41], v[40:41], v[60:61], v[62:63]
	v_fma_f64 v[30:31], v[30:31], v[68:69], -v[92:93]
	v_fma_f64 v[26:27], v[26:27], v[68:69], v[70:71]
	v_fma_f64 v[32:33], v[32:33], v[60:61], -v[88:89]
	v_add_f64 v[55:56], v[42:43], v[46:47]
	v_add_f64 v[57:58], v[36:37], v[34:35]
	;; [unrolled: 1-line block ×5, first 2 shown]
	v_add_f64 v[63:64], v[42:43], -v[46:47]
	v_add_f64 v[65:66], v[36:37], -v[34:35]
	v_add_f64 v[42:43], v[26:27], v[42:43]
	v_fma_f64 v[26:27], v[55:56], -0.5, v[26:27]
	v_fma_f64 v[55:56], v[57:58], -0.5, v[30:31]
	v_add_f64 v[59:60], v[38:39], -v[32:33]
	v_add_f64 v[38:39], v[38:39], v[32:33]
	v_add_f64 v[44:45], v[44:45], -v[40:41]
	v_add_f64 v[30:31], v[30:31], v[36:37]
	v_add_f64 v[36:37], v[51:52], v[40:41]
	v_add_f64 v[40:41], v[53:54], v[32:33]
	v_fma_f64 v[24:25], v[61:62], -0.5, v[24:25]
	v_add_f64 v[32:33], v[42:43], v[46:47]
	v_fma_f64 v[46:47], v[63:64], s[4:5], v[55:56]
	v_fma_f64 v[53:54], v[65:66], s[6:7], v[26:27]
	;; [unrolled: 1-line block ×4, first 2 shown]
	v_fma_f64 v[26:27], v[38:39], -0.5, v[28:29]
	v_add_f64 v[28:29], v[30:31], v[34:35]
	v_fma_f64 v[55:56], v[59:60], s[4:5], v[24:25]
	v_fma_f64 v[57:58], v[59:60], s[6:7], v[24:25]
	v_mul_f64 v[34:35], v[46:47], s[6:7]
	v_mul_f64 v[59:60], v[53:54], s[4:5]
	v_mul_f64 v[30:31], v[42:43], -0.5
	v_mul_f64 v[38:39], v[51:52], -0.5
	v_fma_f64 v[61:62], v[44:45], s[6:7], v[26:27]
	v_fma_f64 v[44:45], v[44:45], s[4:5], v[26:27]
	v_add_f64 v[26:27], v[36:37], v[32:33]
	v_add_f64 v[24:25], v[40:41], v[28:29]
	v_fma_f64 v[53:54], v[53:54], 0.5, v[34:35]
	v_fma_f64 v[46:47], v[46:47], 0.5, v[59:60]
	v_fma_f64 v[51:52], v[51:52], s[6:7], v[30:31]
	v_fma_f64 v[63:64], v[42:43], s[4:5], v[38:39]
	v_add_f64 v[30:31], v[36:37], -v[32:33]
	v_lshlrev_b64 v[72:73], 4, v[72:73]
	v_lshlrev_b64 v[76:77], 4, v[76:77]
	v_add_co_u32_e32 v72, vcc, v49, v72
	v_add_f64 v[38:39], v[57:58], v[53:54]
	v_add_f64 v[36:37], v[44:45], v[46:47]
	;; [unrolled: 1-line block ×4, first 2 shown]
	v_addc_co_u32_e32 v73, vcc, v50, v73, vcc
	v_lshlrev_b64 v[78:79], 4, v[78:79]
	v_add_co_u32_e32 v76, vcc, v49, v76
	v_addc_co_u32_e32 v77, vcc, v50, v77, vcc
	v_add_f64 v[28:29], v[40:41], -v[28:29]
	v_add_co_u32_e32 v59, vcc, v49, v78
	v_addc_co_u32_e32 v60, vcc, v50, v79, vcc
	global_store_dwordx4 v[72:73], v[24:27], off
	global_store_dwordx4 v[76:77], v[36:39], off
	;; [unrolled: 1-line block ×3, first 2 shown]
	v_add_u32_e32 v37, 0x7d0, v74
	v_mov_b32_e32 v34, v83
	v_mad_u64_u32 v[34:35], s[12:13], s3, v94, v[34:35]
	v_lshlrev_b64 v[80:81], 4, v[80:81]
	v_mad_u64_u32 v[35:36], s[12:13], s2, v37, 0
	v_add_f64 v[42:43], v[57:58], -v[53:54]
	v_add_f64 v[40:41], v[44:45], -v[46:47]
	v_add_co_u32_e32 v32, vcc, v49, v80
	v_addc_co_u32_e32 v33, vcc, v50, v81, vcc
	global_store_dwordx4 v[32:33], v[28:31], off
	v_mov_b32_e32 v83, v34
	v_mov_b32_e32 v30, v36
	v_mad_u64_u32 v[30:31], s[12:13], s3, v37, v[30:31]
	v_add_f64 v[26:27], v[55:56], -v[51:52]
	v_add_f64 v[24:25], v[61:62], -v[63:64]
	v_lshlrev_b64 v[28:29], 4, v[82:83]
	v_mov_b32_e32 v36, v30
	v_add_co_u32_e32 v28, vcc, v49, v28
	v_addc_co_u32_e32 v29, vcc, v50, v29, vcc
	global_store_dwordx4 v[28:29], v[40:43], off
	v_lshlrev_b64 v[28:29], 4, v[35:36]
	v_add_co_u32_e32 v28, vcc, v49, v28
	v_addc_co_u32_e32 v29, vcc, v50, v29, vcc
	global_store_dwordx4 v[28:29], v[24:27], off
	s_and_b64 exec, exec, s[0:1]
	s_cbranch_execz .LBB0_26
; %bb.25:
	v_add_u32_e32 v24, 0xffffff60, v74
	v_cndmask_b32_e64 v24, v24, v75, s[0:1]
	v_mul_i32_i24_e32 v47, 5, v24
	v_lshlrev_b64 v[24:25], 4, v[47:48]
	v_mov_b32_e32 v26, s9
	v_add_co_u32_e32 v24, vcc, s8, v24
	v_addc_co_u32_e32 v32, vcc, v26, v25, vcc
	v_add_co_u32_e32 v44, vcc, 0x18c0, v24
	v_addc_co_u32_e32 v45, vcc, 0, v32, vcc
	;; [unrolled: 2-line block ×3, first 2 shown]
	global_load_dwordx4 v[24:27], v[44:45], off offset:32
	global_load_dwordx4 v[28:31], v[44:45], off offset:16
	;; [unrolled: 1-line block ×5, first 2 shown]
	v_add_u32_e32 v59, 0xf0, v74
	v_add_u32_e32 v61, 0x280, v74
	;; [unrolled: 1-line block ×3, first 2 shown]
	v_mad_u64_u32 v[44:45], s[0:1], s2, v59, 0
	v_mad_u64_u32 v[46:47], s[0:1], s2, v61, 0
	v_mad_u64_u32 v[51:52], s[0:1], s2, v62, 0
	v_add_u32_e32 v63, 0x5a0, v74
	v_mad_u64_u32 v[53:54], s[0:1], s2, v63, 0
	v_mov_b32_e32 v48, v52
	v_mad_u64_u32 v[59:60], s[0:1], s3, v59, v[45:46]
	v_add_u32_e32 v64, 0x730, v74
	v_mad_u64_u32 v[60:61], s[0:1], s3, v61, v[47:48]
	v_mad_u64_u32 v[55:56], s[0:1], s2, v64, 0
	v_mov_b32_e32 v52, v54
	v_mad_u64_u32 v[61:62], s[0:1], s3, v62, v[48:49]
	v_mad_u64_u32 v[62:63], s[0:1], s3, v63, v[52:53]
	v_mov_b32_e32 v54, v56
	v_mad_u64_u32 v[63:64], s[0:1], s3, v64, v[54:55]
	v_mov_b32_e32 v52, v61
	v_mov_b32_e32 v54, v62
	;; [unrolled: 1-line block ×5, first 2 shown]
	v_lshlrev_b64 v[44:45], 4, v[44:45]
	v_lshlrev_b64 v[46:47], 4, v[46:47]
	v_add_co_u32_e32 v44, vcc, v49, v44
	v_addc_co_u32_e32 v45, vcc, v50, v45, vcc
	v_add_u32_e32 v69, 0x8c0, v74
	v_lshlrev_b64 v[51:52], 4, v[51:52]
	v_add_co_u32_e32 v46, vcc, v49, v46
	v_mad_u64_u32 v[57:58], s[0:1], s2, v69, 0
	v_addc_co_u32_e32 v47, vcc, v50, v47, vcc
	v_lshlrev_b64 v[53:54], 4, v[53:54]
	v_add_co_u32_e32 v51, vcc, v49, v51
	v_addc_co_u32_e32 v52, vcc, v50, v52, vcc
	s_waitcnt vmcnt(4)
	v_mul_f64 v[61:62], v[20:21], v[26:27]
	v_mul_f64 v[26:27], v[12:13], v[26:27]
	s_waitcnt vmcnt(1)
	v_mul_f64 v[65:66], v[2:3], v[38:39]
	v_mul_f64 v[38:39], v[6:7], v[38:39]
	v_mul_f64 v[59:60], v[22:23], v[30:31]
	v_mul_f64 v[30:31], v[14:15], v[30:31]
	v_mul_f64 v[63:64], v[18:19], v[34:35]
	v_mul_f64 v[34:35], v[10:11], v[34:35]
	s_waitcnt vmcnt(0)
	v_mul_f64 v[67:68], v[4:5], v[42:43]
	v_mul_f64 v[42:43], v[0:1], v[42:43]
	v_fma_f64 v[12:13], v[12:13], v[24:25], -v[61:62]
	v_fma_f64 v[20:21], v[20:21], v[24:25], v[26:27]
	v_fma_f64 v[6:7], v[6:7], v[36:37], v[65:66]
	v_fma_f64 v[2:3], v[2:3], v[36:37], -v[38:39]
	v_fma_f64 v[14:15], v[14:15], v[28:29], -v[59:60]
	v_fma_f64 v[22:23], v[22:23], v[28:29], v[30:31]
	v_fma_f64 v[0:1], v[0:1], v[40:41], -v[67:68]
	v_fma_f64 v[4:5], v[4:5], v[40:41], v[42:43]
	v_fma_f64 v[10:11], v[10:11], v[32:33], -v[63:64]
	v_fma_f64 v[18:19], v[18:19], v[32:33], v[34:35]
	v_add_f64 v[28:29], v[20:21], v[6:7]
	v_add_f64 v[30:31], v[12:13], v[2:3]
	;; [unrolled: 1-line block ×5, first 2 shown]
	v_add_f64 v[34:35], v[22:23], -v[4:5]
	v_add_f64 v[22:23], v[22:23], v[4:5]
	v_add_f64 v[36:37], v[20:21], -v[6:7]
	v_add_f64 v[38:39], v[12:13], -v[2:3]
	v_fma_f64 v[28:29], v[28:29], -0.5, v[18:19]
	v_fma_f64 v[30:31], v[30:31], -0.5, v[10:11]
	v_add_f64 v[14:15], v[14:15], -v[0:1]
	v_add_f64 v[10:11], v[10:11], v[12:13]
	v_add_f64 v[12:13], v[18:19], v[20:21]
	;; [unrolled: 1-line block ×4, first 2 shown]
	v_fma_f64 v[0:1], v[32:33], -0.5, v[8:9]
	v_fma_f64 v[4:5], v[22:23], -0.5, v[16:17]
	v_fma_f64 v[8:9], v[38:39], s[6:7], v[28:29]
	v_fma_f64 v[16:17], v[36:37], s[6:7], v[30:31]
	;; [unrolled: 1-line block ×4, first 2 shown]
	v_add_f64 v[6:7], v[12:13], v[6:7]
	v_add_f64 v[10:11], v[10:11], v[2:3]
	v_fma_f64 v[26:27], v[34:35], s[4:5], v[0:1]
	v_fma_f64 v[28:29], v[34:35], s[6:7], v[0:1]
	v_mul_f64 v[12:13], v[8:9], s[4:5]
	v_mul_f64 v[30:31], v[16:17], -0.5
	v_mul_f64 v[32:33], v[22:23], s[6:7]
	v_mul_f64 v[34:35], v[24:25], -0.5
	v_fma_f64 v[36:37], v[14:15], s[6:7], v[4:5]
	v_fma_f64 v[38:39], v[14:15], s[4:5], v[4:5]
	v_add_f64 v[0:1], v[18:19], v[10:11]
	v_add_f64 v[2:3], v[20:21], v[6:7]
	v_fma_f64 v[22:23], v[22:23], 0.5, v[12:13]
	v_fma_f64 v[24:25], v[24:25], s[4:5], v[30:31]
	v_fma_f64 v[30:31], v[8:9], 0.5, v[32:33]
	v_fma_f64 v[32:33], v[16:17], s[6:7], v[34:35]
	v_add_f64 v[4:5], v[18:19], -v[10:11]
	v_add_f64 v[6:7], v[20:21], -v[6:7]
	v_add_co_u32_e32 v34, vcc, v49, v53
	v_add_f64 v[8:9], v[26:27], v[22:23]
	v_add_f64 v[12:13], v[28:29], v[24:25]
	;; [unrolled: 1-line block ×4, first 2 shown]
	global_store_dwordx4 v[44:45], v[0:3], off
	v_addc_co_u32_e32 v35, vcc, v50, v54, vcc
	v_add_f64 v[0:1], v[26:27], -v[22:23]
	v_add_f64 v[2:3], v[36:37], -v[30:31]
	global_store_dwordx4 v[46:47], v[8:11], off
	global_store_dwordx4 v[51:52], v[12:15], off
	;; [unrolled: 1-line block ×3, first 2 shown]
	s_nop 0
	v_mov_b32_e32 v6, v58
	v_mad_u64_u32 v[6:7], s[0:1], s3, v69, v[6:7]
	v_add_f64 v[16:17], v[28:29], -v[24:25]
	v_add_f64 v[18:19], v[38:39], -v[32:33]
	v_lshlrev_b64 v[4:5], 4, v[55:56]
	v_mov_b32_e32 v58, v6
	v_add_co_u32_e32 v4, vcc, v49, v4
	v_addc_co_u32_e32 v5, vcc, v50, v5, vcc
	global_store_dwordx4 v[4:5], v[0:3], off
	s_nop 0
	v_lshlrev_b64 v[0:1], 4, v[57:58]
	v_add_co_u32_e32 v0, vcc, v49, v0
	v_addc_co_u32_e32 v1, vcc, v50, v1, vcc
	global_store_dwordx4 v[0:1], v[16:19], off
.LBB0_26:
	s_endpgm
	.section	.rodata,"a",@progbits
	.p2align	6, 0x0
	.amdhsa_kernel fft_rtc_fwd_len2400_factors_4_10_10_6_wgs_240_tpt_240_halfLds_dp_ip_CI_sbrr_dirReg
		.amdhsa_group_segment_fixed_size 0
		.amdhsa_private_segment_fixed_size 0
		.amdhsa_kernarg_size 88
		.amdhsa_user_sgpr_count 6
		.amdhsa_user_sgpr_private_segment_buffer 1
		.amdhsa_user_sgpr_dispatch_ptr 0
		.amdhsa_user_sgpr_queue_ptr 0
		.amdhsa_user_sgpr_kernarg_segment_ptr 1
		.amdhsa_user_sgpr_dispatch_id 0
		.amdhsa_user_sgpr_flat_scratch_init 0
		.amdhsa_user_sgpr_private_segment_size 0
		.amdhsa_uses_dynamic_stack 0
		.amdhsa_system_sgpr_private_segment_wavefront_offset 0
		.amdhsa_system_sgpr_workgroup_id_x 1
		.amdhsa_system_sgpr_workgroup_id_y 0
		.amdhsa_system_sgpr_workgroup_id_z 0
		.amdhsa_system_sgpr_workgroup_info 0
		.amdhsa_system_vgpr_workitem_id 0
		.amdhsa_next_free_vgpr 114
		.amdhsa_next_free_sgpr 24
		.amdhsa_reserve_vcc 1
		.amdhsa_reserve_flat_scratch 0
		.amdhsa_float_round_mode_32 0
		.amdhsa_float_round_mode_16_64 0
		.amdhsa_float_denorm_mode_32 3
		.amdhsa_float_denorm_mode_16_64 3
		.amdhsa_dx10_clamp 1
		.amdhsa_ieee_mode 1
		.amdhsa_fp16_overflow 0
		.amdhsa_exception_fp_ieee_invalid_op 0
		.amdhsa_exception_fp_denorm_src 0
		.amdhsa_exception_fp_ieee_div_zero 0
		.amdhsa_exception_fp_ieee_overflow 0
		.amdhsa_exception_fp_ieee_underflow 0
		.amdhsa_exception_fp_ieee_inexact 0
		.amdhsa_exception_int_div_zero 0
	.end_amdhsa_kernel
	.text
.Lfunc_end0:
	.size	fft_rtc_fwd_len2400_factors_4_10_10_6_wgs_240_tpt_240_halfLds_dp_ip_CI_sbrr_dirReg, .Lfunc_end0-fft_rtc_fwd_len2400_factors_4_10_10_6_wgs_240_tpt_240_halfLds_dp_ip_CI_sbrr_dirReg
                                        ; -- End function
	.section	.AMDGPU.csdata,"",@progbits
; Kernel info:
; codeLenInByte = 8636
; NumSgprs: 28
; NumVgprs: 114
; ScratchSize: 0
; MemoryBound: 1
; FloatMode: 240
; IeeeMode: 1
; LDSByteSize: 0 bytes/workgroup (compile time only)
; SGPRBlocks: 3
; VGPRBlocks: 28
; NumSGPRsForWavesPerEU: 28
; NumVGPRsForWavesPerEU: 114
; Occupancy: 2
; WaveLimiterHint : 1
; COMPUTE_PGM_RSRC2:SCRATCH_EN: 0
; COMPUTE_PGM_RSRC2:USER_SGPR: 6
; COMPUTE_PGM_RSRC2:TRAP_HANDLER: 0
; COMPUTE_PGM_RSRC2:TGID_X_EN: 1
; COMPUTE_PGM_RSRC2:TGID_Y_EN: 0
; COMPUTE_PGM_RSRC2:TGID_Z_EN: 0
; COMPUTE_PGM_RSRC2:TIDIG_COMP_CNT: 0
	.type	__hip_cuid_af25046ff19ac64d,@object ; @__hip_cuid_af25046ff19ac64d
	.section	.bss,"aw",@nobits
	.globl	__hip_cuid_af25046ff19ac64d
__hip_cuid_af25046ff19ac64d:
	.byte	0                               ; 0x0
	.size	__hip_cuid_af25046ff19ac64d, 1

	.ident	"AMD clang version 19.0.0git (https://github.com/RadeonOpenCompute/llvm-project roc-6.4.0 25133 c7fe45cf4b819c5991fe208aaa96edf142730f1d)"
	.section	".note.GNU-stack","",@progbits
	.addrsig
	.addrsig_sym __hip_cuid_af25046ff19ac64d
	.amdgpu_metadata
---
amdhsa.kernels:
  - .args:
      - .actual_access:  read_only
        .address_space:  global
        .offset:         0
        .size:           8
        .value_kind:     global_buffer
      - .offset:         8
        .size:           8
        .value_kind:     by_value
      - .actual_access:  read_only
        .address_space:  global
        .offset:         16
        .size:           8
        .value_kind:     global_buffer
      - .actual_access:  read_only
        .address_space:  global
        .offset:         24
        .size:           8
        .value_kind:     global_buffer
      - .offset:         32
        .size:           8
        .value_kind:     by_value
      - .actual_access:  read_only
        .address_space:  global
        .offset:         40
        .size:           8
        .value_kind:     global_buffer
      - .actual_access:  read_only
        .address_space:  global
        .offset:         48
        .size:           8
        .value_kind:     global_buffer
      - .offset:         56
        .size:           4
        .value_kind:     by_value
      - .actual_access:  read_only
        .address_space:  global
        .offset:         64
        .size:           8
        .value_kind:     global_buffer
      - .actual_access:  read_only
        .address_space:  global
        .offset:         72
        .size:           8
        .value_kind:     global_buffer
      - .address_space:  global
        .offset:         80
        .size:           8
        .value_kind:     global_buffer
    .group_segment_fixed_size: 0
    .kernarg_segment_align: 8
    .kernarg_segment_size: 88
    .language:       OpenCL C
    .language_version:
      - 2
      - 0
    .max_flat_workgroup_size: 240
    .name:           fft_rtc_fwd_len2400_factors_4_10_10_6_wgs_240_tpt_240_halfLds_dp_ip_CI_sbrr_dirReg
    .private_segment_fixed_size: 0
    .sgpr_count:     28
    .sgpr_spill_count: 0
    .symbol:         fft_rtc_fwd_len2400_factors_4_10_10_6_wgs_240_tpt_240_halfLds_dp_ip_CI_sbrr_dirReg.kd
    .uniform_work_group_size: 1
    .uses_dynamic_stack: false
    .vgpr_count:     114
    .vgpr_spill_count: 0
    .wavefront_size: 64
amdhsa.target:   amdgcn-amd-amdhsa--gfx906
amdhsa.version:
  - 1
  - 2
...

	.end_amdgpu_metadata
